;; amdgpu-corpus repo=ROCm/rocFFT kind=compiled arch=gfx1100 opt=O3
	.text
	.amdgcn_target "amdgcn-amd-amdhsa--gfx1100"
	.amdhsa_code_object_version 6
	.protected	fft_rtc_back_len1331_factors_11_11_11_wgs_121_tpt_121_dp_op_CI_CI_sbrc_z_xy_unaligned_dirReg ; -- Begin function fft_rtc_back_len1331_factors_11_11_11_wgs_121_tpt_121_dp_op_CI_CI_sbrc_z_xy_unaligned_dirReg
	.globl	fft_rtc_back_len1331_factors_11_11_11_wgs_121_tpt_121_dp_op_CI_CI_sbrc_z_xy_unaligned_dirReg
	.p2align	8
	.type	fft_rtc_back_len1331_factors_11_11_11_wgs_121_tpt_121_dp_op_CI_CI_sbrc_z_xy_unaligned_dirReg,@function
fft_rtc_back_len1331_factors_11_11_11_wgs_121_tpt_121_dp_op_CI_CI_sbrc_z_xy_unaligned_dirReg: ; @fft_rtc_back_len1331_factors_11_11_11_wgs_121_tpt_121_dp_op_CI_CI_sbrc_z_xy_unaligned_dirReg
; %bb.0:
	s_load_b256 s[16:23], s[0:1], 0x0
	v_cmp_gt_u32_e32 vcc_lo, 0x3c8, v0
	v_mov_b32_e32 v77, 0
	v_mov_b32_e32 v3, 0x25d
	v_add_nc_u32_e32 v21, 0x79, v0
	v_mov_b32_e32 v5, 0x34f
	v_mov_b32_e32 v35, 0x4ba
	v_lshl_add_u32 v69, v0, 4, 0
	s_mov_b32 s34, 0x640f44db
	s_mov_b32 s35, 0xbfc2375f
	;; [unrolled: 1-line block ×12, first 2 shown]
	s_waitcnt lgkmcnt(0)
	s_load_b128 s[4:7], s[20:21], 0x8
	s_mov_b32 s21, 0
	s_mov_b32 s44, s38
	;; [unrolled: 1-line block ×4, first 2 shown]
	v_mov_b32_e32 v30, 0x3c8
	v_mov_b32_e32 v34, 0x441
	s_waitcnt lgkmcnt(0)
	s_mul_i32 s5, s6, s4
	v_cvt_f32_u32_e32 v2, s4
	v_cvt_f32_u32_e32 v1, s5
	s_sub_i32 s3, 0, s5
	s_delay_alu instid0(VALU_DEP_2) | instskip(NEXT) | instid1(VALU_DEP_1)
	v_rcp_iflag_f32_e32 v2, v2
	v_rcp_iflag_f32_e32 v1, v1
	s_waitcnt_depctr 0xfff
	v_mul_f32_e32 v1, 0x4f7ffffe, v1
	s_delay_alu instid0(VALU_DEP_1) | instskip(NEXT) | instid1(VALU_DEP_1)
	v_cvt_u32_f32_e32 v1, v1
	v_readfirstlane_b32 s2, v1
	v_mul_f32_e32 v1, 0x4f7ffffe, v2
	v_mov_b32_e32 v2, 0x1e4
	s_delay_alu instid0(VALU_DEP_3) | instskip(NEXT) | instid1(VALU_DEP_2)
	s_mul_i32 s3, s3, s2
	v_cvt_u32_f32_e32 v1, v1
	s_mul_hi_u32 s3, s2, s3
	s_delay_alu instid0(SALU_CYCLE_1) | instskip(NEXT) | instid1(SALU_CYCLE_1)
	s_add_i32 s2, s2, s3
	s_mul_hi_u32 s6, s15, s2
	s_load_b64 s[2:3], s[0:1], 0x20
	s_mul_i32 s7, s6, s5
	s_add_i32 s8, s6, 1
	s_sub_i32 s7, s15, s7
	v_readfirstlane_b32 s10, v1
	s_sub_i32 s9, s7, s5
	s_cmp_ge_u32 s7, s5
	v_mov_b32_e32 v1, 0x16b
	s_cselect_b32 s6, s8, s6
	s_cselect_b32 s7, s9, s7
	s_add_i32 s8, s6, 1
	s_cmp_ge_u32 s7, s5
	v_cndmask_b32_e32 v45, 0xfffffc38, v1, vcc_lo
	s_cselect_b32 s33, s8, s6
	s_sub_i32 s6, 0, s4
	s_mul_i32 s5, s33, s5
	s_mul_i32 s6, s6, s10
	s_sub_i32 s5, s15, s5
	s_mul_hi_u32 s6, s10, s6
	v_cmp_gt_u32_e32 vcc_lo, 0x34f, v0
	s_add_i32 s6, s10, s6
	s_load_b128 s[8:11], s[0:1], 0x58
	s_mul_hi_u32 s0, s5, s6
	s_waitcnt lgkmcnt(0)
	s_clause 0x1
	s_load_b128 s[24:27], s[2:3], 0x0
	s_load_b32 s46, s[2:3], 0x10
	s_mul_i32 s1, s0, s4
	s_mul_hi_u32 s6, s15, s6
	s_sub_i32 s1, s5, s1
	s_add_i32 s5, s0, 1
	s_sub_i32 s7, s1, s4
	s_cmp_ge_u32 s1, s4
	s_mul_i32 s6, s6, s4
	s_cselect_b32 s0, s5, s0
	s_cselect_b32 s1, s7, s1
	s_add_i32 s5, s0, 1
	s_cmp_ge_u32 s1, s4
	v_cndmask_b32_e32 v46, 0xfffffcb1, v2, vcc_lo
	s_cselect_b32 s20, s5, s0
	s_sub_i32 s0, s15, s6
	s_load_b128 s[12:15], s[22:23], 0x0
	s_sub_i32 s1, s0, s4
	s_cmp_ge_u32 s0, s4
	v_cmp_gt_u32_e32 vcc_lo, 0x2d6, v0
	s_cselect_b32 s0, s1, s0
	v_dual_mov_b32 v4, 0x2d6 :: v_dual_add_nc_u32 v23, v45, v0
	s_sub_i32 s1, s0, s4
	s_cmp_ge_u32 s0, s4
	v_cndmask_b32_e32 v47, 0xfffffd2a, v3, vcc_lo
	s_waitcnt lgkmcnt(0)
	s_cselect_b32 s27, s1, s0
	s_lshl_b64 s[0:1], s[18:19], 3
	s_mul_i32 s4, s25, s27
	s_mul_hi_u32 s5, s24, s27
	v_cmp_gt_u32_e32 vcc_lo, 0x25d, v0
	s_add_i32 s25, s5, s4
	s_add_u32 s2, s2, s0
	s_addc_u32 s3, s3, s1
	v_add_nc_u32_e32 v27, v47, v0
	s_load_b64 s[18:19], s[2:3], 0x0
	v_cndmask_b32_e32 v48, 0xfffffda3, v4, vcc_lo
	s_load_b32 s2, s[22:23], 0x10
	v_cmp_gt_u32_e32 vcc_lo, 0x1e4, v0
	v_mad_u64_u32 v[1:2], null, s12, v0, 0
	s_delay_alu instid0(VALU_DEP_3) | instskip(SKIP_2) | instid1(VALU_DEP_3)
	v_add_nc_u32_e32 v28, v48, v0
	v_mad_u64_u32 v[3:4], null, s12, v21, 0
	v_dual_cndmask_b32 v49, 0xfffffe1c, v5 :: v_dual_add_nc_u32 v24, v46, v0
	v_mad_u64_u32 v[25:26], null, s12, v28, 0
	v_add_nc_u32_e32 v22, 0xf2, v0
	v_mad_u64_u32 v[7:8], null, s12, v23, 0
	v_mad_u64_u32 v[18:19], null, s13, v0, v[2:3]
	;; [unrolled: 1-line block ×3, first 2 shown]
	v_mov_b32_e32 v15, v26
	s_waitcnt lgkmcnt(0)
	s_mul_i32 s4, s19, s33
	s_mul_hi_u32 s5, s18, s33
	v_mad_u64_u32 v[5:6], null, s12, v22, 0
	s_add_i32 s15, s5, s4
	s_add_u32 s0, s22, s0
	s_addc_u32 s1, s23, s1
	v_mad_u64_u32 v[11:12], null, s12, v27, 0
	s_load_b64 s[4:5], s[0:1], 0x0
	s_delay_alu instid0(VALU_DEP_2)
	v_mad_u64_u32 v[19:20], null, s13, v21, v[4:5]
	v_cmp_lt_u32_e32 vcc_lo, 0x3c7, v0
	v_mad_u64_u32 v[20:21], null, s13, v22, v[6:7]
	v_mov_b32_e32 v2, v18
	v_mad_u64_u32 v[21:22], null, s13, v23, v[8:9]
	v_cndmask_b32_e64 v76, 0, s14, vcc_lo
	s_mul_i32 s2, s20, s2
	s_mul_i32 s0, s27, s14
	v_mov_b32_e32 v4, v19
	v_mad_u64_u32 v[22:23], null, s13, v24, v[10:11]
	s_mov_b32 s3, s21
	s_add_i32 s2, s0, s2
	v_lshlrev_b64 v[1:2], 4, v[1:2]
	v_mov_b32_e32 v6, v20
	v_lshlrev_b64 v[13:14], 4, v[76:77]
	s_waitcnt lgkmcnt(0)
	s_mul_i32 s5, s5, s33
	s_mul_hi_u32 s6, s4, s33
	s_mul_i32 s4, s4, s33
	s_add_i32 s5, s6, s5
	v_lshlrev_b64 v[3:4], 4, v[3:4]
	s_lshl_b64 s[4:5], s[4:5], 4
	v_mov_b32_e32 v8, v21
	s_add_u32 s4, s8, s4
	s_addc_u32 s5, s9, s5
	s_lshl_b64 s[2:3], s[2:3], 4
	v_lshlrev_b64 v[5:6], 4, v[5:6]
	s_add_u32 s7, s4, s2
	s_addc_u32 s8, s5, s3
	v_add_co_u32 v1, s2, s7, v1
	v_mov_b32_e32 v10, v22
	v_cmp_lt_u32_e64 s0, 0x34e, v0
	v_mad_u64_u32 v[23:24], null, s13, v27, v[12:13]
	v_add_co_ci_u32_e64 v2, s2, s8, v2, s2
	v_lshlrev_b64 v[7:8], 4, v[7:8]
	v_add_co_u32 v18, s2, s7, v3
	s_delay_alu instid0(VALU_DEP_1)
	v_add_co_ci_u32_e64 v19, s2, s8, v4, s2
	v_lshlrev_b64 v[9:10], 4, v[9:10]
	v_add_co_u32 v20, s2, s7, v5
	v_cndmask_b32_e64 v76, 0, s14, s0
	v_add_co_ci_u32_e64 v21, s2, s8, v6, s2
	v_add_co_u32 v22, s2, s7, v7
	v_cmp_lt_u32_e64 s1, 0x2d5, v0
	v_mov_b32_e32 v12, v23
	v_add_co_ci_u32_e64 v23, s2, s8, v8, s2
	v_lshlrev_b64 v[16:17], 4, v[76:77]
	v_add_co_u32 v9, s2, s7, v9
	s_delay_alu instid0(VALU_DEP_1) | instskip(SKIP_3) | instid1(VALU_DEP_1)
	v_add_co_ci_u32_e64 v10, s2, s8, v10, s2
	v_cndmask_b32_e64 v76, 0, s14, s1
	v_lshlrev_b64 v[11:12], 4, v[11:12]
	v_add_co_u32 v13, s2, v22, v13
	v_add_co_ci_u32_e64 v14, s2, v23, v14, s2
	s_clause 0x1
	global_load_b128 v[1:4], v[1:2], off
	global_load_b128 v[5:8], v[18:19], off
	v_add_co_u32 v18, s2, v9, v16
	v_mad_u64_u32 v[22:23], null, s13, v28, v[15:16]
	v_lshlrev_b64 v[26:27], 4, v[76:77]
	v_add_co_ci_u32_e64 v19, s2, v10, v17, s2
	v_add_co_u32 v9, s2, s7, v11
	s_delay_alu instid0(VALU_DEP_1) | instskip(SKIP_1) | instid1(VALU_DEP_3)
	v_add_co_ci_u32_e64 v10, s2, s8, v12, s2
	v_lshlrev_b32_e32 v46, 4, v46
	v_add_co_u32 v23, s2, v9, v26
	v_dual_mov_b32 v26, v22 :: v_dual_add_nc_u32 v31, v49, v0
	s_delay_alu instid0(VALU_DEP_4) | instskip(SKIP_1) | instid1(VALU_DEP_3)
	v_add_co_ci_u32_e64 v24, s2, v10, v27, s2
	v_cmp_gt_u32_e64 s2, 0x16b, v0
	v_lshlrev_b64 v[25:26], 4, v[25:26]
	s_delay_alu instid0(VALU_DEP_4) | instskip(SKIP_1) | instid1(VALU_DEP_4)
	v_mad_u64_u32 v[28:29], null, s12, v31, 0
	v_cndmask_b32_e64 v54, 0, 1, s0
	v_cndmask_b32_e64 v50, 0xfffffe95, v30, s2
	v_cmp_lt_u32_e64 s2, 0x25c, v0
	s_clause 0x3
	global_load_b128 v[9:12], v[20:21], off
	global_load_b128 v[13:16], v[13:14], off
	;; [unrolled: 1-line block ×4, first 2 shown]
	v_cndmask_b32_e64 v53, 0, 1, vcc_lo
	v_mov_b32_e32 v27, v29
	v_cndmask_b32_e64 v76, 0, s14, s2
	v_add_nc_u32_e32 v33, v50, v0
	v_lshlrev_b32_e32 v48, 4, v48
	v_lshlrev_b32_e32 v45, 4, v45
	v_mad_u64_u32 v[29:30], null, s13, v31, v[27:28]
	v_add_co_u32 v27, s3, s7, v25
	s_delay_alu instid0(VALU_DEP_1)
	v_add_co_ci_u32_e64 v32, s3, s8, v26, s3
	v_lshlrev_b64 v[25:26], 4, v[76:77]
	v_mad_u64_u32 v[30:31], null, s12, v33, 0
	v_lshlrev_b64 v[28:29], 4, v[28:29]
	v_lshlrev_b32_e32 v50, 4, v50
	v_lshlrev_b32_e32 v54, 4, v54
	v_add_co_u32 v25, s3, v27, v25
	s_delay_alu instid0(VALU_DEP_1) | instskip(SKIP_3) | instid1(VALU_DEP_1)
	v_add_co_ci_u32_e64 v26, s3, v32, v26, s3
	v_cmp_gt_u32_e64 s3, 0xf2, v0
	v_mov_b32_e32 v27, v31
	v_add_co_u32 v39, s4, s7, v28
	v_add_co_ci_u32_e64 v40, s4, s8, v29, s4
	s_delay_alu instid0(VALU_DEP_4) | instskip(SKIP_3) | instid1(VALU_DEP_4)
	v_cndmask_b32_e64 v51, 0xffffff0e, v34, s3
	v_cmp_gt_u32_e64 s3, 0x79, v0
	v_mad_u64_u32 v[31:32], null, s13, v33, v[27:28]
	v_cmp_lt_u32_e64 s4, 0x16a, v0
	v_add_nc_u32_e32 v37, v51, v0
	s_delay_alu instid0(VALU_DEP_4)
	v_cndmask_b32_e64 v52, 0xffffff87, v35, s3
	v_cmp_lt_u32_e64 s3, 0x1e3, v0
	v_cndmask_b32_e64 v55, 0, 1, s1
	v_lshlrev_b32_e32 v53, 4, v53
	v_mad_u64_u32 v[32:33], null, s12, v37, 0
	v_add_nc_u32_e32 v38, v52, v0
	v_lshlrev_b64 v[30:31], 4, v[30:31]
	v_cndmask_b32_e64 v76, 0, s14, s3
	v_lshlrev_b32_e32 v52, 4, v52
	v_cndmask_b32_e64 v56, 0, 1, s2
	v_mad_u64_u32 v[34:35], null, s12, v38, 0
	v_mov_b32_e32 v29, v33
	v_lshlrev_b64 v[27:28], 4, v[76:77]
	v_cndmask_b32_e64 v76, 0, s14, s4
	v_lshlrev_b32_e32 v47, 4, v47
	v_lshlrev_b32_e32 v55, 4, v55
	v_add3_u32 v45, v69, v45, v53
	v_mov_b32_e32 v33, v35
	v_mad_u64_u32 v[35:36], null, s13, v37, v[29:30]
	v_add3_u32 v46, v69, v46, v54
	v_cndmask_b32_e64 v53, 0, 1, s3
	s_delay_alu instid0(VALU_DEP_4) | instskip(SKIP_1) | instid1(VALU_DEP_1)
	v_mad_u64_u32 v[36:37], null, s13, v38, v[33:34]
	v_add_co_u32 v37, s5, v39, v27
	v_add_co_ci_u32_e64 v38, s5, v40, v28, s5
	v_lshlrev_b64 v[27:28], 4, v[76:77]
	v_mov_b32_e32 v33, v35
	v_add_co_u32 v39, s5, s7, v30
	s_delay_alu instid0(VALU_DEP_1) | instskip(NEXT) | instid1(VALU_DEP_3)
	v_add_co_ci_u32_e64 v31, s5, s8, v31, s5
	v_lshlrev_b64 v[29:30], 4, v[32:33]
	s_delay_alu instid0(VALU_DEP_3) | instskip(NEXT) | instid1(VALU_DEP_1)
	v_add_co_u32 v39, s5, v39, v27
	v_add_co_ci_u32_e64 v40, s5, v31, v28, s5
	v_cmp_lt_u32_e64 s5, 0xf1, v0
	v_mov_b32_e32 v35, v36
	v_add_co_u32 v31, s6, s7, v29
	s_delay_alu instid0(VALU_DEP_1) | instskip(NEXT) | instid1(VALU_DEP_4)
	v_add_co_ci_u32_e64 v32, s6, s8, v30, s6
	v_cndmask_b32_e64 v76, 0, s14, s5
	v_cmp_lt_u32_e64 s6, 0x78, v0
	v_lshlrev_b64 v[27:28], 4, v[34:35]
	v_lshlrev_b32_e32 v54, 4, v56
	v_cndmask_b32_e64 v56, 0, 1, s4
	v_lshlrev_b64 v[29:30], 4, v[76:77]
	v_cndmask_b32_e64 v76, 0, s14, s6
	v_cndmask_b32_e64 v57, 0, 1, s5
	v_add_co_u32 v33, s7, s7, v27
	s_delay_alu instid0(VALU_DEP_1) | instskip(NEXT) | instid1(VALU_DEP_4)
	v_add_co_ci_u32_e64 v34, s7, s8, v28, s7
	v_lshlrev_b64 v[27:28], 4, v[76:77]
	v_add_co_u32 v41, s7, v31, v29
	s_delay_alu instid0(VALU_DEP_1) | instskip(SKIP_1) | instid1(VALU_DEP_4)
	v_add_co_ci_u32_e64 v42, s7, v32, v30, s7
	v_cndmask_b32_e64 v58, 0, 1, s6
	v_add_co_u32 v43, s7, v33, v27
	s_delay_alu instid0(VALU_DEP_1)
	v_add_co_ci_u32_e64 v44, s7, v34, v28, s7
	s_clause 0x4
	global_load_b128 v[25:28], v[25:26], off
	global_load_b128 v[29:32], v[37:38], off
	;; [unrolled: 1-line block ×5, first 2 shown]
	v_lshlrev_b32_e32 v49, 4, v49
	v_lshlrev_b32_e32 v51, 4, v51
	v_add3_u32 v47, v69, v47, v55
	v_lshlrev_b32_e32 v53, 4, v53
	v_lshlrev_b32_e32 v55, 4, v56
	;; [unrolled: 1-line block ×4, first 2 shown]
	v_add3_u32 v48, v69, v48, v54
	v_add3_u32 v49, v69, v49, v53
	;; [unrolled: 1-line block ×5, first 2 shown]
	s_mov_b32 s6, 0xf8bb580b
	s_mov_b32 s0, 0x8764f0ba
	;; [unrolled: 1-line block ×15, first 2 shown]
	s_mul_i32 s24, s24, s27
	s_mul_i32 s20, s20, s26
	;; [unrolled: 1-line block ×3, first 2 shown]
	s_waitcnt vmcnt(10)
	ds_store_b128 v69, v[1:4]
	s_waitcnt vmcnt(9)
	ds_store_b128 v69, v[5:8] offset:1936
	s_waitcnt vmcnt(8)
	ds_store_b128 v69, v[9:12] offset:3872
	s_waitcnt vmcnt(7)
	ds_store_b128 v45, v[13:16]
	s_waitcnt vmcnt(6)
	ds_store_b128 v46, v[17:20]
	;; [unrolled: 2-line block ×8, first 2 shown]
	s_waitcnt lgkmcnt(0)
	s_barrier
	buffer_gl0_inv
	ds_load_b128 v[5:8], v69
	ds_load_b128 v[25:28], v69 offset:1936
	ds_load_b128 v[1:4], v69 offset:19360
	;; [unrolled: 1-line block ×10, first 2 shown]
	s_waitcnt lgkmcnt(0)
	s_barrier
	buffer_gl0_inv
	v_add_f64 v[29:30], v[5:6], v[25:26]
	v_add_f64 v[31:32], v[7:8], v[27:28]
	v_add_f64 v[49:50], v[27:28], -v[3:4]
	v_add_f64 v[51:52], v[27:28], v[3:4]
	v_add_f64 v[59:60], v[39:40], -v[15:16]
	v_add_f64 v[65:66], v[37:38], v[13:14]
	v_add_f64 v[67:68], v[39:40], v[15:16]
	v_add_f64 v[70:71], v[37:38], -v[13:14]
	v_add_f64 v[53:54], v[35:36], -v[11:12]
	v_add_f64 v[61:62], v[25:26], v[1:2]
	v_add_f64 v[63:64], v[25:26], -v[1:2]
	v_add_f64 v[72:73], v[23:24], v[19:20]
	v_add_f64 v[74:75], v[23:24], -v[19:20]
	v_add_f64 v[82:83], v[33:34], v[9:10]
	v_add_f64 v[27:28], v[41:42], v[45:46]
	v_add_f64 v[25:26], v[41:42], -v[45:46]
	v_add_f64 v[78:79], v[43:44], v[47:48]
	v_add_f64 v[80:81], v[43:44], -v[47:48]
	v_add_f64 v[55:56], v[29:30], v[33:34]
	v_add_f64 v[57:58], v[31:32], v[35:36]
	;; [unrolled: 1-line block ×3, first 2 shown]
	v_mul_f64 v[84:85], v[49:50], s[6:7]
	v_mul_f64 v[86:87], v[51:52], s[0:1]
	;; [unrolled: 1-line block ×10, first 2 shown]
	v_add_f64 v[31:32], v[21:22], v[17:18]
	v_add_f64 v[29:30], v[21:22], -v[17:18]
	v_add_f64 v[33:34], v[33:34], -v[9:10]
	v_mul_f64 v[100:101], v[53:54], s[4:5]
	v_mul_f64 v[102:103], v[53:54], s[28:29]
	;; [unrolled: 1-line block ×22, first 2 shown]
	v_add_f64 v[37:38], v[55:56], v[37:38]
	v_add_f64 v[39:40], v[57:58], v[39:40]
	v_mul_f64 v[55:56], v[35:36], s[8:9]
	v_mul_f64 v[57:58], v[35:36], s[40:41]
	;; [unrolled: 1-line block ×3, first 2 shown]
	v_fma_f64 v[160:161], v[61:62], s[8:9], v[88:89]
	v_fma_f64 v[162:163], v[63:64], s[12:13], v[90:91]
	v_fma_f64 v[88:89], v[61:62], s[8:9], -v[88:89]
	v_fma_f64 v[164:165], v[61:62], s[34:35], v[92:93]
	v_fma_f64 v[166:167], v[63:64], s[30:31], v[94:95]
	v_mul_f64 v[110:111], v[35:36], s[34:35]
	v_fma_f64 v[92:93], v[61:62], s[34:35], -v[92:93]
	v_fma_f64 v[168:169], v[61:62], s[40:41], v[96:97]
	v_fma_f64 v[96:97], v[61:62], s[40:41], -v[96:97]
	v_fma_f64 v[170:171], v[61:62], s[42:43], v[49:50]
	v_fma_f64 v[49:50], v[61:62], s[42:43], -v[49:50]
	v_mul_f64 v[35:36], v[35:36], s[0:1]
	v_fma_f64 v[172:173], v[63:64], s[44:45], v[51:52]
	v_fma_f64 v[51:52], v[63:64], s[38:39], v[51:52]
	;; [unrolled: 1-line block ×5, first 2 shown]
	v_fma_f64 v[102:103], v[82:83], s[40:41], -v[102:103]
	v_fma_f64 v[176:177], v[82:83], s[42:43], v[104:105]
	v_fma_f64 v[104:105], v[82:83], s[42:43], -v[104:105]
	v_fma_f64 v[178:179], v[82:83], s[34:35], v[106:107]
	;; [unrolled: 2-line block ×4, first 2 shown]
	v_fma_f64 v[188:189], v[65:66], s[8:9], v[116:117]
	v_fma_f64 v[114:115], v[65:66], s[42:43], -v[114:115]
	v_fma_f64 v[116:117], v[65:66], s[8:9], -v[116:117]
	v_fma_f64 v[190:191], v[65:66], s[0:1], v[118:119]
	v_mul_f64 v[74:75], v[74:75], s[12:13]
	v_mul_f64 v[136:137], v[72:73], s[40:41]
	;; [unrolled: 1-line block ×3, first 2 shown]
	v_fma_f64 v[192:193], v[65:66], s[40:41], v[59:60]
	v_add_f64 v[21:22], v[37:38], v[21:22]
	v_add_f64 v[23:24], v[39:40], v[23:24]
	v_fma_f64 v[37:38], v[61:62], s[0:1], v[84:85]
	v_fma_f64 v[39:40], v[63:64], s[2:3], v[86:87]
	v_fma_f64 v[86:87], v[63:64], s[6:7], v[86:87]
	v_fma_f64 v[84:85], v[61:62], s[0:1], -v[84:85]
	v_fma_f64 v[61:62], v[63:64], s[36:37], v[98:99]
	v_fma_f64 v[98:99], v[63:64], s[28:29], v[98:99]
	;; [unrolled: 1-line block ×3, first 2 shown]
	v_fma_f64 v[100:101], v[82:83], s[8:9], -v[100:101]
	v_fma_f64 v[82:83], v[33:34], s[12:13], v[55:56]
	v_fma_f64 v[55:56], v[33:34], s[4:5], v[55:56]
	;; [unrolled: 1-line block ×3, first 2 shown]
	v_add_f64 v[160:161], v[5:6], v[160:161]
	v_add_f64 v[162:163], v[7:8], v[162:163]
	v_fma_f64 v[184:185], v[33:34], s[38:39], v[108:109]
	v_add_f64 v[88:89], v[5:6], v[88:89]
	v_add_f64 v[164:165], v[5:6], v[164:165]
	v_add_f64 v[166:167], v[7:8], v[166:167]
	v_add_f64 v[92:93], v[5:6], v[92:93]
	v_add_f64 v[168:169], v[5:6], v[168:169]
	v_add_f64 v[96:97], v[5:6], v[96:97]
	v_add_f64 v[170:171], v[5:6], v[170:171]
	v_add_f64 v[172:173], v[7:8], v[172:173]
	v_fma_f64 v[57:58], v[33:34], s[28:29], v[57:58]
	v_fma_f64 v[108:109], v[33:34], s[44:45], v[108:109]
	v_add_f64 v[94:95], v[7:8], v[94:95]
	v_add_f64 v[90:91], v[7:8], v[90:91]
	v_fma_f64 v[118:119], v[65:66], s[0:1], -v[118:119]
	v_fma_f64 v[59:60], v[65:66], s[40:41], -v[59:60]
	v_mul_f64 v[146:147], v[80:81], s[2:3]
	v_mul_f64 v[152:153], v[78:79], s[0:1]
	v_fma_f64 v[194:195], v[31:32], s[34:35], v[130:131]
	v_mul_f64 v[148:149], v[80:81], s[28:29]
	v_mul_f64 v[154:155], v[78:79], s[40:41]
	v_fma_f64 v[196:197], v[31:32], s[0:1], v[132:133]
	v_mul_f64 v[150:151], v[80:81], s[12:13]
	v_mul_f64 v[156:157], v[78:79], s[8:9]
	v_add_f64 v[21:22], v[21:22], v[41:42]
	v_add_f64 v[23:24], v[23:24], v[43:44]
	;; [unrolled: 1-line block ×3, first 2 shown]
	v_fma_f64 v[41:42], v[33:34], s[22:23], v[110:111]
	v_add_f64 v[86:87], v[7:8], v[86:87]
	v_add_f64 v[84:85], v[5:6], v[84:85]
	;; [unrolled: 1-line block ×3, first 2 shown]
	v_fma_f64 v[43:44], v[33:34], s[30:31], v[110:111]
	v_fma_f64 v[110:111], v[33:34], s[6:7], v[35:36]
	;; [unrolled: 1-line block ×3, first 2 shown]
	v_add_f64 v[5:6], v[5:6], v[49:50]
	v_add_f64 v[49:50], v[7:8], v[51:52]
	v_add_f64 v[51:52], v[7:8], v[98:99]
	v_add_f64 v[7:8], v[7:8], v[39:40]
	v_fma_f64 v[35:36], v[65:66], s[34:35], v[112:113]
	v_fma_f64 v[39:40], v[70:71], s[38:39], v[122:123]
	v_add_f64 v[88:89], v[102:103], v[88:89]
	v_fma_f64 v[112:113], v[65:66], s[34:35], -v[112:113]
	v_add_f64 v[102:103], v[184:185], v[166:167]
	v_add_f64 v[92:93], v[104:105], v[92:93]
	;; [unrolled: 1-line block ×3, first 2 shown]
	v_fma_f64 v[98:99], v[70:71], s[12:13], v[124:125]
	v_fma_f64 v[65:66], v[70:71], s[30:31], v[120:121]
	;; [unrolled: 1-line block ×4, first 2 shown]
	v_mul_f64 v[144:145], v[80:81], s[38:39]
	v_mul_f64 v[80:81], v[80:81], s[22:23]
	;; [unrolled: 1-line block ×4, first 2 shown]
	v_fma_f64 v[130:131], v[31:32], s[34:35], -v[130:131]
	v_fma_f64 v[132:133], v[31:32], s[0:1], -v[132:133]
	;; [unrolled: 1-line block ×3, first 2 shown]
	v_add_f64 v[21:22], v[21:22], v[45:46]
	v_add_f64 v[23:24], v[23:24], v[47:48]
	;; [unrolled: 1-line block ×6, first 2 shown]
	v_fma_f64 v[47:48], v[70:71], s[4:5], v[124:125]
	v_add_f64 v[84:85], v[100:101], v[84:85]
	v_add_f64 v[100:101], v[176:177], v[164:165]
	v_fma_f64 v[45:46], v[70:71], s[44:45], v[122:123]
	v_fma_f64 v[122:123], v[70:71], s[2:3], v[126:127]
	v_add_f64 v[41:42], v[41:42], v[61:62]
	v_fma_f64 v[124:125], v[70:71], s[6:7], v[126:127]
	v_fma_f64 v[126:127], v[70:71], s[36:37], v[67:68]
	v_add_f64 v[61:62], v[106:107], v[96:97]
	v_add_f64 v[96:97], v[180:181], v[170:171]
	;; [unrolled: 1-line block ×3, first 2 shown]
	v_fma_f64 v[67:68], v[70:71], s[28:29], v[67:68]
	v_add_f64 v[5:6], v[53:54], v[5:6]
	v_add_f64 v[33:34], v[33:34], v[49:50]
	;; [unrolled: 1-line block ×6, first 2 shown]
	v_fma_f64 v[57:58], v[29:30], s[22:23], v[138:139]
	v_fma_f64 v[82:83], v[29:30], s[2:3], v[140:141]
	;; [unrolled: 1-line block ×4, first 2 shown]
	v_fma_f64 v[128:129], v[31:32], s[40:41], -v[128:129]
	v_fma_f64 v[110:111], v[29:30], s[4:5], v[72:73]
	v_fma_f64 v[53:54], v[29:30], s[28:29], v[136:137]
	;; [unrolled: 1-line block ×4, first 2 shown]
	v_fma_f64 v[140:141], v[27:28], s[0:1], -v[146:147]
	v_add_f64 v[17:18], v[21:22], v[17:18]
	v_add_f64 v[19:20], v[23:24], v[19:20]
	;; [unrolled: 1-line block ×10, first 2 shown]
	v_fma_f64 v[21:22], v[31:32], s[8:9], v[74:75]
	v_add_f64 v[41:42], v[122:123], v[41:42]
	v_add_f64 v[84:85], v[112:113], v[84:85]
	v_fma_f64 v[23:24], v[31:32], s[8:9], -v[74:75]
	v_fma_f64 v[31:32], v[29:30], s[36:37], v[136:137]
	v_add_f64 v[96:97], v[192:193], v[96:97]
	v_add_f64 v[100:101], v[126:127], v[106:107]
	v_fma_f64 v[74:75], v[29:30], s[30:31], v[138:139]
	v_fma_f64 v[29:30], v[29:30], s[12:13], v[72:73]
	v_add_f64 v[55:56], v[120:121], v[55:56]
	v_add_f64 v[5:6], v[59:60], v[5:6]
	;; [unrolled: 1-line block ×8, first 2 shown]
	v_fma_f64 v[138:139], v[27:28], s[0:1], v[146:147]
	v_fma_f64 v[98:99], v[25:26], s[36:37], v[154:155]
	;; [unrolled: 1-line block ×5, first 2 shown]
	v_fma_f64 v[136:137], v[27:28], s[42:43], -v[144:145]
	v_fma_f64 v[51:52], v[27:28], s[40:41], -v[148:149]
	;; [unrolled: 1-line block ×3, first 2 shown]
	v_fma_f64 v[67:68], v[27:28], s[34:35], v[80:81]
	v_fma_f64 v[102:103], v[25:26], s[28:29], v[154:155]
	;; [unrolled: 1-line block ×3, first 2 shown]
	v_add_f64 v[13:14], v[17:18], v[13:14]
	v_add_f64 v[15:16], v[19:20], v[15:16]
	v_fma_f64 v[17:18], v[25:26], s[6:7], v[152:153]
	v_add_f64 v[37:38], v[194:195], v[37:38]
	v_fma_f64 v[19:20], v[27:28], s[40:41], v[148:149]
	v_add_f64 v[39:40], v[57:58], v[39:40]
	v_add_f64 v[47:48], v[82:83], v[47:48]
	;; [unrolled: 1-line block ×5, first 2 shown]
	v_fma_f64 v[27:28], v[27:28], s[34:35], -v[80:81]
	v_add_f64 v[41:42], v[94:95], v[41:42]
	v_fma_f64 v[80:81], v[25:26], s[2:3], v[152:153]
	v_fma_f64 v[112:113], v[25:26], s[30:31], v[158:159]
	;; [unrolled: 1-line block ×5, first 2 shown]
	v_add_f64 v[25:26], v[128:129], v[84:85]
	v_add_f64 v[82:83], v[21:22], v[96:97]
	;; [unrolled: 1-line block ×13, first 2 shown]
	v_mul_u32_u24_e32 v5, 0x1746, v0
	s_delay_alu instid0(VALU_DEP_1) | instskip(SKIP_2) | instid1(VALU_DEP_3)
	v_lshrrev_b32_e32 v29, 16, v5
	v_add_f64 v[94:95], v[13:14], v[9:10]
	v_add_f64 v[96:97], v[15:16], v[11:12]
	v_mul_lo_u16 v30, v29, 11
	v_add_f64 v[13:14], v[138:139], v[37:38]
	v_add_f64 v[15:16], v[17:18], v[39:40]
	;; [unrolled: 1-line block ×6, first 2 shown]
	v_sub_nc_u16 v30, v0, v30
	v_add_f64 v[33:34], v[104:105], v[41:42]
	v_mad_u32_u24 v48, 0xb0, v0, 0
	s_delay_alu instid0(VALU_DEP_3)
	v_and_b32_e32 v30, 0xffff, v30
	v_add_f64 v[5:6], v[136:137], v[25:26]
	v_add_f64 v[39:40], v[67:68], v[82:83]
	;; [unrolled: 1-line block ×13, first 2 shown]
	v_mul_u32_u24_e32 v47, 10, v30
	s_delay_alu instid0(VALU_DEP_1)
	v_lshlrev_b32_e32 v47, 4, v47
	v_add_f64 v[1:2], v[94:95], v[1:2]
	v_add_f64 v[3:4], v[96:97], v[3:4]
	ds_store_b128 v48, v[13:16] offset:32
	ds_store_b128 v48, v[21:24] offset:48
	;; [unrolled: 1-line block ×10, first 2 shown]
	ds_store_b128 v48, v[1:4]
	s_waitcnt lgkmcnt(0)
	s_barrier
	buffer_gl0_inv
	s_clause 0x9
	global_load_b128 v[5:8], v47, s[16:17]
	global_load_b128 v[9:12], v47, s[16:17] offset:144
	global_load_b128 v[13:16], v47, s[16:17] offset:16
	;; [unrolled: 1-line block ×9, first 2 shown]
	ds_load_b128 v[47:50], v69 offset:1936
	ds_load_b128 v[1:4], v69
	ds_load_b128 v[51:54], v69 offset:19360
	ds_load_b128 v[55:58], v69 offset:3872
	;; [unrolled: 1-line block ×9, first 2 shown]
	s_waitcnt vmcnt(0) lgkmcnt(0)
	s_barrier
	buffer_gl0_inv
	v_mul_f64 v[67:68], v[49:50], v[7:8]
	v_mul_f64 v[7:8], v[47:48], v[7:8]
	;; [unrolled: 1-line block ×19, first 2 shown]
	v_fma_f64 v[47:48], v[47:48], v[5:6], v[67:68]
	v_fma_f64 v[49:50], v[49:50], v[5:6], -v[7:8]
	v_mul_f64 v[67:68], v[53:54], v[11:12]
	v_fma_f64 v[5:6], v[53:54], v[9:10], -v[74:75]
	v_fma_f64 v[53:54], v[57:58], v[13:14], -v[94:95]
	;; [unrolled: 1-line block ×4, first 2 shown]
	v_fma_f64 v[55:56], v[55:56], v[13:14], v[15:16]
	v_fma_f64 v[11:12], v[72:73], v[25:26], -v[100:101]
	v_fma_f64 v[13:14], v[59:60], v[17:18], v[19:20]
	v_fma_f64 v[15:16], v[70:71], v[25:26], v[27:28]
	;; [unrolled: 1-line block ×3, first 2 shown]
	v_fma_f64 v[31:32], v[80:81], v[31:32], -v[33:34]
	v_fma_f64 v[25:26], v[82:83], v[35:36], v[104:105]
	v_fma_f64 v[27:28], v[84:85], v[35:36], -v[37:38]
	v_fma_f64 v[17:18], v[92:93], v[39:40], -v[106:107]
	v_fma_f64 v[19:20], v[90:91], v[39:40], v[41:42]
	v_add_f64 v[61:62], v[1:2], v[47:48]
	v_add_f64 v[65:66], v[3:4], v[49:50]
	v_fma_f64 v[9:10], v[51:52], v[9:10], v[67:68]
	v_fma_f64 v[51:52], v[63:64], v[21:22], v[23:24]
	v_fma_f64 v[23:24], v[88:89], v[43:44], -v[45:46]
	v_add_f64 v[33:34], v[49:50], -v[5:6]
	v_add_f64 v[35:36], v[49:50], v[5:6]
	v_fma_f64 v[21:22], v[86:87], v[43:44], v[108:109]
	v_add_f64 v[37:38], v[53:54], -v[7:8]
	v_add_f64 v[39:40], v[53:54], v[7:8]
	v_add_f64 v[41:42], v[57:58], -v[11:12]
	v_add_f64 v[43:44], v[57:58], v[11:12]
	;; [unrolled: 2-line block ×3, first 2 shown]
	v_add_f64 v[70:71], v[59:60], v[19:20]
	v_add_f64 v[84:85], v[59:60], -v[19:20]
	v_add_f64 v[45:46], v[61:62], v[55:56]
	v_add_f64 v[49:50], v[65:66], v[53:54]
	;; [unrolled: 1-line block ×3, first 2 shown]
	v_add_f64 v[47:48], v[47:48], -v[9:10]
	v_add_f64 v[61:62], v[55:56], v[13:14]
	v_mul_f64 v[86:87], v[33:34], s[6:7]
	v_mul_f64 v[88:89], v[35:36], s[0:1]
	;; [unrolled: 1-line block ×10, first 2 shown]
	v_add_f64 v[55:56], v[55:56], -v[13:14]
	v_add_f64 v[63:64], v[51:52], v[15:16]
	v_add_f64 v[65:66], v[51:52], -v[15:16]
	v_mul_f64 v[102:103], v[37:38], s[4:5]
	v_mul_f64 v[104:105], v[39:40], s[8:9]
	;; [unrolled: 1-line block ×7, first 2 shown]
	v_add_f64 v[72:73], v[25:26], v[21:22]
	v_add_f64 v[74:75], v[25:26], -v[21:22]
	v_add_f64 v[78:79], v[27:28], -v[23:24]
	v_add_f64 v[80:81], v[27:28], v[23:24]
	v_mul_f64 v[106:107], v[41:42], s[22:23]
	v_mul_f64 v[118:119], v[41:42], s[44:45]
	v_mul_f64 v[124:125], v[43:44], s[42:43]
	v_mul_f64 v[108:109], v[43:44], s[34:35]
	v_mul_f64 v[120:121], v[41:42], s[12:13]
	v_mul_f64 v[122:123], v[41:42], s[6:7]
	v_mul_f64 v[41:42], v[41:42], s[28:29]
	v_mul_f64 v[126:127], v[43:44], s[8:9]
	v_mul_f64 v[128:129], v[43:44], s[0:1]
	v_add_f64 v[45:46], v[45:46], v[51:52]
	v_add_f64 v[49:50], v[49:50], v[57:58]
	v_mul_f64 v[51:52], v[37:38], s[28:29]
	v_mul_f64 v[57:58], v[37:38], s[44:45]
	;; [unrolled: 1-line block ×5, first 2 shown]
	v_fma_f64 v[162:163], v[53:54], s[8:9], v[90:91]
	v_fma_f64 v[164:165], v[47:48], s[12:13], v[92:93]
	v_fma_f64 v[90:91], v[53:54], s[8:9], -v[90:91]
	v_fma_f64 v[166:167], v[53:54], s[34:35], v[94:95]
	v_fma_f64 v[168:169], v[47:48], s[30:31], v[96:97]
	v_fma_f64 v[94:95], v[53:54], s[34:35], -v[94:95]
	;; [unrolled: 3-line block ×3, first 2 shown]
	v_fma_f64 v[174:175], v[53:54], s[42:43], v[33:34]
	v_fma_f64 v[33:34], v[53:54], s[42:43], -v[33:34]
	v_fma_f64 v[100:101], v[47:48], s[28:29], v[100:101]
	v_fma_f64 v[96:97], v[47:48], s[22:23], v[96:97]
	;; [unrolled: 1-line block ×5, first 2 shown]
	v_fma_f64 v[110:111], v[61:62], s[34:35], -v[110:111]
	v_fma_f64 v[188:189], v[55:56], s[38:39], v[114:115]
	v_mul_f64 v[132:133], v[67:68], s[30:31]
	v_mul_f64 v[134:135], v[67:68], s[6:7]
	v_mul_f64 v[136:137], v[67:68], s[38:39]
	v_mul_f64 v[67:68], v[67:68], s[12:13]
	v_mul_f64 v[140:141], v[82:83], s[34:35]
	v_fma_f64 v[178:179], v[63:64], s[34:35], -v[106:107]
	v_mul_f64 v[138:139], v[82:83], s[40:41]
	v_mul_f64 v[142:143], v[82:83], s[0:1]
	v_fma_f64 v[190:191], v[63:64], s[8:9], v[120:121]
	v_fma_f64 v[120:121], v[63:64], s[8:9], -v[120:121]
	v_fma_f64 v[192:193], v[63:64], s[0:1], v[122:123]
	v_fma_f64 v[122:123], v[63:64], s[0:1], -v[122:123]
	v_fma_f64 v[194:195], v[63:64], s[40:41], v[41:42]
	v_add_f64 v[45:46], v[45:46], v[59:60]
	v_add_f64 v[31:32], v[49:50], v[31:32]
	v_fma_f64 v[49:50], v[53:54], s[0:1], v[86:87]
	v_fma_f64 v[59:60], v[47:48], s[2:3], v[88:89]
	v_fma_f64 v[86:87], v[53:54], s[0:1], -v[86:87]
	v_fma_f64 v[88:89], v[47:48], s[6:7], v[88:89]
	v_fma_f64 v[53:54], v[47:48], s[44:45], v[35:36]
	;; [unrolled: 1-line block ×3, first 2 shown]
	v_fma_f64 v[47:48], v[61:62], s[8:9], -v[102:103]
	v_fma_f64 v[102:103], v[61:62], s[8:9], v[102:103]
	v_fma_f64 v[180:181], v[61:62], s[40:41], v[51:52]
	v_fma_f64 v[51:52], v[61:62], s[40:41], -v[51:52]
	v_fma_f64 v[182:183], v[61:62], s[42:43], v[57:58]
	v_fma_f64 v[57:58], v[61:62], s[42:43], -v[57:58]
	;; [unrolled: 2-line block ×3, first 2 shown]
	v_fma_f64 v[61:62], v[55:56], s[12:13], v[104:105]
	v_fma_f64 v[104:105], v[55:56], s[36:37], v[112:113]
	v_add_f64 v[162:163], v[1:2], v[162:163]
	v_add_f64 v[164:165], v[3:4], v[164:165]
	;; [unrolled: 1-line block ×11, first 2 shown]
	v_fma_f64 v[112:113], v[55:56], s[28:29], v[112:113]
	v_add_f64 v[92:93], v[3:4], v[92:93]
	v_fma_f64 v[41:42], v[63:64], s[40:41], -v[41:42]
	v_mul_f64 v[144:145], v[82:83], s[42:43]
	v_mul_f64 v[82:83], v[82:83], s[8:9]
	;; [unrolled: 1-line block ×4, first 2 shown]
	v_fma_f64 v[196:197], v[70:71], s[34:35], v[132:133]
	v_mul_f64 v[152:153], v[78:79], s[28:29]
	v_add_f64 v[25:26], v[45:46], v[25:26]
	v_add_f64 v[27:28], v[31:32], v[27:28]
	;; [unrolled: 1-line block ×3, first 2 shown]
	v_fma_f64 v[45:46], v[55:56], s[22:23], v[116:117]
	v_add_f64 v[86:87], v[1:2], v[86:87]
	v_add_f64 v[88:89], v[3:4], v[88:89]
	v_fma_f64 v[31:32], v[55:56], s[44:45], v[114:115]
	v_fma_f64 v[114:115], v[55:56], s[30:31], v[116:117]
	;; [unrolled: 1-line block ×3, first 2 shown]
	v_add_f64 v[53:54], v[3:4], v[53:54]
	v_fma_f64 v[39:40], v[55:56], s[2:3], v[39:40]
	v_add_f64 v[1:2], v[1:2], v[33:34]
	v_add_f64 v[33:34], v[3:4], v[35:36]
	;; [unrolled: 1-line block ×4, first 2 shown]
	v_fma_f64 v[55:56], v[63:64], s[34:35], v[106:107]
	v_fma_f64 v[106:107], v[63:64], s[42:43], v[118:119]
	v_fma_f64 v[118:119], v[63:64], s[42:43], -v[118:119]
	v_fma_f64 v[63:64], v[65:66], s[22:23], v[108:109]
	v_fma_f64 v[59:60], v[65:66], s[4:5], v[126:127]
	v_add_f64 v[51:52], v[51:52], v[90:91]
	v_add_f64 v[90:91], v[182:183], v[166:167]
	v_fma_f64 v[100:101], v[65:66], s[12:13], v[126:127]
	v_add_f64 v[57:58], v[57:58], v[94:95]
	v_add_f64 v[94:95], v[184:185], v[170:171]
	;; [unrolled: 3-line block ×3, first 2 shown]
	v_fma_f64 v[108:109], v[65:66], s[30:31], v[108:109]
	v_mul_f64 v[158:159], v[80:81], s[40:41]
	v_fma_f64 v[198:199], v[70:71], s[0:1], v[134:135]
	v_mul_f64 v[154:155], v[78:79], s[12:13]
	v_mul_f64 v[160:161], v[80:81], s[8:9]
	v_fma_f64 v[200:201], v[70:71], s[42:43], v[136:137]
	v_mul_f64 v[146:147], v[78:79], s[38:39]
	v_mul_f64 v[148:149], v[80:81], s[42:43]
	;; [unrolled: 1-line block ×4, first 2 shown]
	v_add_f64 v[21:22], v[25:26], v[21:22]
	v_add_f64 v[23:24], v[27:28], v[23:24]
	v_fma_f64 v[25:26], v[65:66], s[38:39], v[124:125]
	v_add_f64 v[49:50], v[102:103], v[49:50]
	v_add_f64 v[47:48], v[47:48], v[86:87]
	;; [unrolled: 1-line block ×6, first 2 shown]
	v_fma_f64 v[27:28], v[65:66], s[44:45], v[124:125]
	v_fma_f64 v[124:125], v[65:66], s[2:3], v[128:129]
	v_add_f64 v[45:46], v[45:46], v[172:173]
	v_fma_f64 v[128:129], v[65:66], s[36:37], v[43:44]
	v_add_f64 v[53:54], v[116:117], v[53:54]
	v_fma_f64 v[43:44], v[65:66], s[28:29], v[43:44]
	v_add_f64 v[1:2], v[37:38], v[1:2]
	v_add_f64 v[33:34], v[39:40], v[33:34]
	v_add_f64 v[35:36], v[114:115], v[35:36]
	;; [unrolled: 1-line block ×5, first 2 shown]
	v_fma_f64 v[39:40], v[84:85], s[28:29], v[138:139]
	v_fma_f64 v[92:93], v[84:85], s[2:3], v[142:143]
	v_fma_f64 v[65:66], v[70:71], s[40:41], -v[130:131]
	v_fma_f64 v[112:113], v[84:85], s[44:45], v[144:145]
	v_fma_f64 v[116:117], v[84:85], s[4:5], v[82:83]
	;; [unrolled: 1-line block ×4, first 2 shown]
	v_fma_f64 v[134:135], v[70:71], s[0:1], -v[134:135]
	v_fma_f64 v[136:137], v[70:71], s[42:43], -v[136:137]
	v_fma_f64 v[114:115], v[84:85], s[38:39], v[144:145]
	v_add_f64 v[57:58], v[120:121], v[57:58]
	v_fma_f64 v[96:97], v[84:85], s[6:7], v[142:143]
	v_fma_f64 v[132:133], v[70:71], s[34:35], -v[132:133]
	v_add_f64 v[51:52], v[118:119], v[51:52]
	v_fma_f64 v[61:62], v[84:85], s[36:37], v[138:139]
	v_fma_f64 v[142:143], v[72:73], s[0:1], v[150:151]
	;; [unrolled: 1-line block ×3, first 2 shown]
	v_add_f64 v[19:20], v[21:22], v[19:20]
	v_add_f64 v[17:18], v[23:24], v[17:18]
	v_fma_f64 v[21:22], v[70:71], s[8:9], v[67:68]
	v_fma_f64 v[23:24], v[70:71], s[8:9], -v[67:68]
	v_fma_f64 v[67:68], v[84:85], s[22:23], v[140:141]
	v_add_f64 v[49:50], v[55:56], v[49:50]
	v_add_f64 v[55:56], v[106:107], v[88:89]
	;; [unrolled: 1-line block ×16, first 2 shown]
	v_fma_f64 v[70:71], v[84:85], s[30:31], v[140:141]
	v_add_f64 v[27:28], v[27:28], v[37:38]
	v_add_f64 v[3:4], v[108:109], v[3:4]
	v_fma_f64 v[37:38], v[72:73], s[40:41], v[152:153]
	v_fma_f64 v[104:105], v[74:75], s[36:37], v[158:159]
	;; [unrolled: 1-line block ×5, first 2 shown]
	v_fma_f64 v[84:85], v[72:73], s[42:43], -v[146:147]
	v_fma_f64 v[138:139], v[74:75], s[38:39], v[148:149]
	v_fma_f64 v[140:141], v[72:73], s[42:43], v[146:147]
	v_fma_f64 v[41:42], v[72:73], s[40:41], -v[152:153]
	v_fma_f64 v[98:99], v[72:73], s[8:9], -v[154:155]
	v_fma_f64 v[102:103], v[74:75], s[2:3], v[156:157]
	v_fma_f64 v[106:107], v[74:75], s[28:29], v[158:159]
	;; [unrolled: 1-line block ×3, first 2 shown]
	v_add_f64 v[57:58], v[134:135], v[57:58]
	v_add_f64 v[15:16], v[19:20], v[15:16]
	;; [unrolled: 1-line block ×3, first 2 shown]
	v_fma_f64 v[17:18], v[74:75], s[6:7], v[156:157]
	v_fma_f64 v[19:20], v[72:73], s[0:1], -v[150:151]
	v_fma_f64 v[72:73], v[72:73], s[34:35], -v[78:79]
	v_fma_f64 v[78:79], v[74:75], s[44:45], v[148:149]
	v_add_f64 v[55:56], v[196:197], v[55:56]
	v_add_f64 v[25:26], v[67:68], v[25:26]
	;; [unrolled: 1-line block ×10, first 2 shown]
	v_fma_f64 v[74:75], v[74:75], s[22:23], v[80:81]
	v_add_f64 v[49:50], v[130:131], v[49:50]
	v_add_f64 v[80:81], v[23:24], v[1:2]
	v_add_f64 v[33:34], v[82:83], v[33:34]
	v_add_f64 v[67:68], v[136:137], v[90:91]
	v_add_f64 v[82:83], v[114:115], v[35:36]
	v_add_f64 v[86:87], v[96:97], v[31:32]
	v_add_f64 v[51:52], v[132:133], v[51:52]
	v_add_f64 v[27:28], v[70:71], v[27:28]
	v_add_f64 v[61:62], v[61:62], v[3:4]
	v_mul_u32_u24_e32 v1, 0x21e, v0
	s_delay_alu instid0(VALU_DEP_1)
	v_lshrrev_b32_e32 v96, 16, v1
	v_add_f64 v[31:32], v[41:42], v[57:58]
	v_add_f64 v[70:71], v[15:16], v[13:14]
	;; [unrolled: 1-line block ×22, first 2 shown]
	v_lshlrev_b32_e32 v27, 4, v30
	v_add_f64 v[7:8], v[70:71], v[9:10]
	v_add_f64 v[9:10], v[88:89], v[5:6]
	v_mul_lo_u16 v5, 0x79, v96
	v_mul_u32_u24_e32 v6, 0x790, v29
	v_mul_lo_u16 v96, 0x4ba, v96
	s_delay_alu instid0(VALU_DEP_3) | instskip(NEXT) | instid1(VALU_DEP_3)
	v_sub_nc_u16 v5, v0, v5
	v_add3_u32 v6, 0, v6, v27
	ds_store_b128 v6, v[15:18] offset:352
	ds_store_b128 v6, v[23:26] offset:528
	;; [unrolled: 1-line block ×10, first 2 shown]
	ds_store_b128 v6, v[7:10]
	v_mul_lo_u16 v5, v5, 10
	s_waitcnt lgkmcnt(0)
	s_barrier
	buffer_gl0_inv
	v_and_b32_e32 v98, 0xffff, v96
	v_and_b32_e32 v5, 0xffff, v5
	s_delay_alu instid0(VALU_DEP_2) | instskip(NEXT) | instid1(VALU_DEP_2)
	v_add_nc_u32_e32 v0, v0, v98
	v_lshlrev_b32_e32 v51, 4, v5
	s_clause 0x9
	global_load_b128 v[65:68], v51, s[16:17] offset:1760
	global_load_b128 v[1:4], v51, s[16:17] offset:1904
	;; [unrolled: 1-line block ×10, first 2 shown]
	ds_load_b128 v[78:81], v69 offset:1936
	ds_load_b128 v[37:40], v69
	ds_load_b128 v[41:44], v69 offset:19360
	ds_load_b128 v[73:76], v69 offset:3872
	;; [unrolled: 1-line block ×7, first 2 shown]
	s_lshl_b64 s[16:17], s[24:25], 4
	s_delay_alu instid0(SALU_CYCLE_1) | instskip(SKIP_2) | instid1(SALU_CYCLE_1)
	s_add_u32 s16, s10, s16
	s_addc_u32 s17, s11, s17
	s_lshl_b64 s[10:11], s[20:21], 4
	s_add_u32 s16, s16, s10
	s_addc_u32 s17, s17, s11
	s_lshl_b64 s[10:11], s[14:15], 4
	s_delay_alu instid0(SALU_CYCLE_1)
	s_add_u32 s10, s16, s10
	s_addc_u32 s11, s17, s11
	s_waitcnt vmcnt(9) lgkmcnt(8)
	v_mul_f64 v[70:71], v[67:68], v[80:81]
	v_mul_f64 v[67:68], v[78:79], v[67:68]
	s_waitcnt vmcnt(8) lgkmcnt(6)
	v_mul_f64 v[94:95], v[41:42], v[3:4]
	s_waitcnt vmcnt(7) lgkmcnt(5)
	v_mul_f64 v[92:93], v[73:74], v[35:36]
	v_mul_f64 v[90:91], v[35:36], v[75:76]
	s_waitcnt vmcnt(5) lgkmcnt(3)
	v_mul_f64 v[82:83], v[49:50], v[19:20]
	s_waitcnt vmcnt(3) lgkmcnt(1)
	v_mul_f64 v[88:89], v[61:62], v[31:32]
	v_mul_f64 v[96:97], v[3:4], v[43:44]
	;; [unrolled: 1-line block ×5, first 2 shown]
	s_waitcnt vmcnt(2) lgkmcnt(0)
	v_mul_f64 v[86:87], v[57:58], v[27:28]
	v_mul_f64 v[23:24], v[23:24], v[55:56]
	v_mul_f64 v[27:28], v[27:28], v[59:60]
	v_fma_f64 v[35:36], v[65:66], v[78:79], v[70:71]
	v_fma_f64 v[78:79], v[65:66], v[80:81], -v[67:68]
	v_mul_f64 v[80:81], v[45:46], v[15:16]
	v_mul_f64 v[15:16], v[15:16], v[47:48]
	v_fma_f64 v[3:4], v[1:2], v[43:44], -v[94:95]
	v_fma_f64 v[43:44], v[33:34], v[75:76], -v[92:93]
	v_fma_f64 v[33:34], v[33:34], v[73:74], v[90:91]
	ds_load_b128 v[65:68], v69 offset:11616
	ds_load_b128 v[69:72], v69 offset:9680
	v_fma_f64 v[63:64], v[29:30], v[63:64], -v[88:89]
	v_mul_lo_u32 v76, v0, s46
	v_fma_f64 v[51:52], v[17:18], v[51:52], -v[82:83]
	v_fma_f64 v[55:56], v[21:22], v[55:56], -v[84:85]
	;; [unrolled: 1-line block ×3, first 2 shown]
	v_fma_f64 v[0:1], v[1:2], v[41:42], v[96:97]
	s_mulk_i32 s46, 0x79
	s_waitcnt vmcnt(1) lgkmcnt(1)
	v_mul_f64 v[98:99], v[7:8], v[67:68]
	s_waitcnt vmcnt(0) lgkmcnt(0)
	v_mul_f64 v[100:101], v[11:12], v[71:72]
	v_mul_f64 v[7:8], v[65:66], v[7:8]
	;; [unrolled: 1-line block ×3, first 2 shown]
	v_add_f64 v[73:74], v[37:38], v[35:36]
	v_add_f64 v[90:91], v[78:79], v[39:40]
	v_fma_f64 v[47:48], v[13:14], v[47:48], -v[80:81]
	v_fma_f64 v[13:14], v[13:14], v[45:46], v[15:16]
	v_fma_f64 v[15:16], v[17:18], v[49:50], v[19:20]
	;; [unrolled: 1-line block ×3, first 2 shown]
	v_lshlrev_b64 v[80:81], 4, v[76:77]
	v_fma_f64 v[17:18], v[21:22], v[53:54], v[23:24]
	v_fma_f64 v[21:22], v[25:26], v[57:58], v[27:28]
	v_add_nc_u32_e32 v76, s46, v76
	v_add_f64 v[53:54], v[63:64], -v[51:52]
	v_add_co_u32 v45, vcc_lo, s10, v80
	v_add_co_ci_u32_e32 v46, vcc_lo, s11, v81, vcc_lo
	s_delay_alu instid0(VALU_DEP_4) | instskip(SKIP_3) | instid1(VALU_DEP_4)
	v_lshlrev_b64 v[23:24], 4, v[76:77]
	v_add_f64 v[82:83], v[55:56], v[59:60]
	v_add_f64 v[57:58], v[59:60], -v[55:56]
	v_add_nc_u32_e32 v76, s46, v76
	v_add_co_u32 v49, vcc_lo, s10, v23
	v_add_co_ci_u32_e32 v50, vcc_lo, s11, v24, vcc_lo
	v_fma_f64 v[25:26], v[5:6], v[65:66], v[98:99]
	v_fma_f64 v[27:28], v[9:10], v[69:70], v[100:101]
	v_fma_f64 v[5:6], v[5:6], v[67:68], -v[7:8]
	v_fma_f64 v[7:8], v[9:10], v[71:72], -v[11:12]
	v_add_f64 v[9:10], v[78:79], -v[3:4]
	v_add_f64 v[11:12], v[3:4], v[78:79]
	v_add_f64 v[67:68], v[0:1], v[35:36]
	v_add_f64 v[35:36], v[35:36], -v[0:1]
	v_add_f64 v[78:79], v[51:52], v[63:64]
	v_lshlrev_b64 v[41:42], 4, v[76:77]
	v_add_nc_u32_e32 v76, s46, v76
	v_add_f64 v[29:30], v[33:34], v[73:74]
	v_add_f64 v[31:32], v[43:44], v[90:91]
	v_add_f64 v[23:24], v[43:44], -v[47:48]
	v_add_f64 v[43:44], v[47:48], v[43:44]
	v_add_f64 v[69:70], v[13:14], v[33:34]
	;; [unrolled: 1-line block ×3, first 2 shown]
	v_add_f64 v[80:81], v[19:20], -v[15:16]
	v_add_f64 v[33:34], v[33:34], -v[13:14]
	v_add_f64 v[73:74], v[17:18], v[21:22]
	v_add_f64 v[84:85], v[21:22], -v[17:18]
	v_mul_f64 v[108:109], v[53:54], s[22:23]
	v_mul_f64 v[114:115], v[53:54], s[44:45]
	;; [unrolled: 1-line block ×5, first 2 shown]
	v_lshlrev_b64 v[61:62], 4, v[76:77]
	v_add_nc_u32_e32 v76, s46, v76
	v_mul_f64 v[146:147], v[82:83], s[8:9]
	v_mul_f64 v[110:111], v[57:58], s[28:29]
	v_mul_f64 v[148:149], v[82:83], s[42:43]
	v_mul_f64 v[150:151], v[82:83], s[0:1]
	v_mul_f64 v[152:153], v[82:83], s[34:35]
	v_mul_f64 v[82:83], v[82:83], s[40:41]
	v_mul_f64 v[116:117], v[57:58], s[30:31]
	v_mul_f64 v[118:119], v[57:58], s[12:13]
	v_mul_f64 v[120:121], v[57:58], s[38:39]
	v_mul_f64 v[57:58], v[57:58], s[6:7]
	v_add_f64 v[86:87], v[25:26], v[27:28]
	v_add_f64 v[88:89], v[27:28], -v[25:26]
	v_add_f64 v[90:91], v[7:8], -v[5:6]
	v_mul_f64 v[94:95], v[9:10], s[6:7]
	v_mul_f64 v[96:97], v[11:12], s[0:1]
	;; [unrolled: 1-line block ×6, first 2 shown]
	v_add_f64 v[92:93], v[5:6], v[7:8]
	v_mul_f64 v[138:139], v[78:79], s[40:41]
	v_add_f64 v[19:20], v[19:20], v[29:30]
	v_add_f64 v[29:30], v[63:64], v[31:32]
	v_mul_f64 v[31:32], v[9:10], s[22:23]
	v_mul_f64 v[63:64], v[11:12], s[34:35]
	;; [unrolled: 1-line block ×18, first 2 shown]
	v_fma_f64 v[190:191], v[71:72], s[42:43], v[114:115]
	v_fma_f64 v[196:197], v[71:72], s[40:41], v[122:123]
	v_fma_f64 v[122:123], v[71:72], s[40:41], -v[122:123]
	v_fma_f64 v[186:187], v[73:74], s[40:41], v[110:111]
	v_fma_f64 v[192:193], v[73:74], s[34:35], v[116:117]
	v_add_co_u32 v65, vcc_lo, s10, v41
	v_fma_f64 v[194:195], v[73:74], s[0:1], v[57:58]
	v_fma_f64 v[57:58], v[73:74], s[0:1], -v[57:58]
	v_mul_f64 v[154:155], v[90:91], s[2:3]
	v_fma_f64 v[166:167], v[67:68], s[0:1], v[94:95]
	v_fma_f64 v[168:169], v[35:36], s[2:3], v[96:97]
	v_fma_f64 v[170:171], v[67:68], s[8:9], v[98:99]
	v_fma_f64 v[172:173], v[35:36], s[12:13], v[100:101]
	v_fma_f64 v[178:179], v[67:68], s[40:41], v[102:103]
	v_fma_f64 v[180:181], v[35:36], s[36:37], v[104:105]
	v_fma_f64 v[102:103], v[67:68], s[40:41], -v[102:103]
	v_fma_f64 v[104:105], v[35:36], s[28:29], v[104:105]
	v_add_f64 v[19:20], v[21:22], v[19:20]
	v_add_f64 v[21:22], v[59:60], v[29:30]
	v_fma_f64 v[174:175], v[67:68], s[34:35], v[31:32]
	v_fma_f64 v[176:177], v[35:36], s[30:31], v[63:64]
	;; [unrolled: 1-line block ×4, first 2 shown]
	v_fma_f64 v[9:10], v[67:68], s[42:43], -v[9:10]
	v_fma_f64 v[11:12], v[35:36], s[38:39], v[11:12]
	v_fma_f64 v[31:32], v[67:68], s[34:35], -v[31:32]
	v_fma_f64 v[63:64], v[35:36], s[22:23], v[63:64]
	;; [unrolled: 2-line block ×4, first 2 shown]
	v_fma_f64 v[94:95], v[69:70], s[8:9], v[106:107]
	v_fma_f64 v[188:189], v[69:70], s[40:41], v[112:113]
	v_fma_f64 v[198:199], v[69:70], s[0:1], v[126:127]
	v_fma_f64 v[126:127], v[69:70], s[0:1], -v[126:127]
	v_fma_f64 v[200:201], v[69:70], s[34:35], v[128:129]
	v_fma_f64 v[128:129], v[69:70], s[34:35], -v[128:129]
	v_fma_f64 v[202:203], v[69:70], s[42:43], v[23:24]
	v_fma_f64 v[23:24], v[69:70], s[42:43], -v[23:24]
	v_fma_f64 v[112:113], v[69:70], s[40:41], -v[112:113]
	;; [unrolled: 1-line block ×3, first 2 shown]
	v_fma_f64 v[106:107], v[33:34], s[6:7], v[130:131]
	v_fma_f64 v[130:131], v[33:34], s[2:3], v[130:131]
	;; [unrolled: 1-line block ×10, first 2 shown]
	v_add_f64 v[43:44], v[37:38], v[166:167]
	v_add_f64 v[166:167], v[39:40], v[168:169]
	;; [unrolled: 1-line block ×16, first 2 shown]
	v_fma_f64 v[96:97], v[71:72], s[34:35], v[108:109]
	v_add_f64 v[35:36], v[39:40], v[35:36]
	v_fma_f64 v[184:185], v[80:81], s[38:39], v[144:145]
	v_fma_f64 v[144:145], v[80:81], s[44:45], v[144:145]
	;; [unrolled: 1-line block ×4, first 2 shown]
	v_mul_f64 v[29:30], v[90:91], s[38:39]
	v_mul_f64 v[59:60], v[92:93], s[42:43]
	;; [unrolled: 1-line block ×9, first 2 shown]
	v_fma_f64 v[21:22], v[73:74], s[8:9], v[118:119]
	v_fma_f64 v[27:28], v[73:74], s[8:9], -v[118:119]
	v_fma_f64 v[118:119], v[73:74], s[42:43], v[120:121]
	v_fma_f64 v[120:121], v[73:74], s[42:43], -v[120:121]
	v_add_co_ci_u32_e32 v66, vcc_lo, s11, v42, vcc_lo
	v_lshlrev_b64 v[41:42], 4, v[76:77]
	v_add_f64 v[43:44], v[94:95], v[43:44]
	v_add_nc_u32_e32 v76, s46, v76
	v_add_f64 v[94:95], v[188:189], v[168:169]
	v_add_co_u32 v61, vcc_lo, s10, v61
	v_add_f64 v[19:20], v[25:26], v[19:20]
	v_add_f64 v[5:6], v[5:6], v[7:8]
	;; [unrolled: 1-line block ×7, first 2 shown]
	v_fma_f64 v[39:40], v[71:72], s[0:1], v[124:125]
	v_fma_f64 v[67:68], v[71:72], s[0:1], -v[124:125]
	v_fma_f64 v[102:103], v[71:72], s[8:9], v[53:54]
	v_fma_f64 v[53:54], v[71:72], s[8:9], -v[53:54]
	v_fma_f64 v[104:105], v[71:72], s[42:43], -v[114:115]
	;; [unrolled: 1-line block ×3, first 2 shown]
	v_fma_f64 v[108:109], v[80:81], s[36:37], v[138:139]
	v_add_f64 v[106:107], v[106:107], v[182:183]
	v_fma_f64 v[114:115], v[80:81], s[28:29], v[138:139]
	v_fma_f64 v[124:125], v[80:81], s[2:3], v[140:141]
	;; [unrolled: 1-line block ×5, first 2 shown]
	v_add_f64 v[80:81], v[210:211], v[166:167]
	v_add_f64 v[166:167], v[208:209], v[170:171]
	;; [unrolled: 1-line block ×10, first 2 shown]
	v_fma_f64 v[35:36], v[73:74], s[34:35], -v[116:117]
	v_fma_f64 v[116:117], v[84:85], s[22:23], v[152:153]
	v_fma_f64 v[98:99], v[84:85], s[44:45], v[148:149]
	v_add_f64 v[43:44], v[96:97], v[43:44]
	v_fma_f64 v[112:113], v[84:85], s[6:7], v[150:151]
	v_add_f64 v[94:95], v[190:191], v[94:95]
	v_add_co_ci_u32_e32 v62, vcc_lo, s11, v62, vcc_lo
	v_add_f64 v[17:18], v[17:18], v[19:20]
	v_add_f64 v[5:6], v[55:56], v[5:6]
	;; [unrolled: 1-line block ×9, first 2 shown]
	v_fma_f64 v[69:70], v[84:85], s[4:5], v[146:147]
	v_fma_f64 v[128:129], v[84:85], s[36:37], v[82:83]
	v_fma_f64 v[63:64], v[73:74], s[40:41], -v[110:111]
	v_fma_f64 v[110:111], v[84:85], s[2:3], v[150:151]
	v_fma_f64 v[73:74], v[84:85], s[12:13], v[146:147]
	v_add_f64 v[106:107], v[108:109], v[106:107]
	v_fma_f64 v[100:101], v[84:85], s[38:39], v[148:149]
	v_fma_f64 v[126:127], v[84:85], s[30:31], v[152:153]
	;; [unrolled: 1-line block ×5, first 2 shown]
	v_add_f64 v[80:81], v[212:213], v[80:81]
	v_add_f64 v[96:97], v[184:185], v[166:167]
	;; [unrolled: 1-line block ×7, first 2 shown]
	v_fma_f64 v[132:133], v[86:87], s[0:1], v[154:155]
	v_fma_f64 v[134:135], v[88:89], s[6:7], v[156:157]
	v_add_f64 v[33:34], v[78:79], v[33:34]
	v_fma_f64 v[78:79], v[86:87], s[40:41], -v[90:91]
	v_fma_f64 v[108:109], v[88:89], s[4:5], v[164:165]
	v_fma_f64 v[59:60], v[88:89], s[38:39], v[59:60]
	v_add_f64 v[43:44], v[186:187], v[43:44]
	v_add_f64 v[15:16], v[15:16], v[17:18]
	;; [unrolled: 1-line block ×12, first 2 shown]
	v_fma_f64 v[51:52], v[86:87], s[34:35], v[158:159]
	v_fma_f64 v[53:54], v[86:87], s[34:35], -v[158:159]
	v_fma_f64 v[55:56], v[86:87], s[8:9], v[160:161]
	v_add_f64 v[69:70], v[69:70], v[106:107]
	v_fma_f64 v[67:68], v[86:87], s[8:9], -v[160:161]
	v_fma_f64 v[71:72], v[86:87], s[40:41], v[90:91]
	v_fma_f64 v[90:91], v[86:87], s[0:1], -v[154:155]
	v_fma_f64 v[86:87], v[86:87], s[42:43], -v[29:30]
	v_fma_f64 v[29:30], v[88:89], s[30:31], v[162:163]
	v_add_f64 v[80:81], v[128:129], v[80:81]
	v_fma_f64 v[104:105], v[88:89], s[22:23], v[162:163]
	v_fma_f64 v[114:115], v[88:89], s[12:13], v[164:165]
	;; [unrolled: 1-line block ×5, first 2 shown]
	v_add_f64 v[88:89], v[192:193], v[94:95]
	v_add_f64 v[94:95], v[116:117], v[96:97]
	;; [unrolled: 1-line block ×19, first 2 shown]
	v_lshlrev_b64 v[5:6], 4, v[76:77]
	v_add_co_u32 v120, vcc_lo, s10, v41
	v_add_co_ci_u32_e32 v121, vcc_lo, s11, v42, vcc_lo
	v_add_nc_u32_e32 v76, s46, v76
	s_delay_alu instid0(VALU_DEP_4)
	v_add_co_u32 v126, vcc_lo, s10, v5
	v_add_co_ci_u32_e32 v127, vcc_lo, s11, v6, vcc_lo
	v_add_f64 v[5:6], v[84:85], v[43:44]
	v_add_f64 v[7:8], v[130:131], v[80:81]
	;; [unrolled: 1-line block ×3, first 2 shown]
	v_lshlrev_b64 v[124:125], 4, v[76:77]
	v_add_nc_u32_e32 v76, s46, v76
	v_add_f64 v[9:10], v[132:133], v[88:89]
	v_add_f64 v[11:12], v[134:135], v[94:95]
	;; [unrolled: 1-line block ×8, first 2 shown]
	v_add_co_u32 v51, vcc_lo, s10, v124
	v_add_co_ci_u32_e32 v52, vcc_lo, s11, v125, vcc_lo
	v_add_f64 v[0:1], v[0:1], v[106:107]
	v_add_f64 v[2:3], v[3:4], v[47:48]
	v_add_f64 v[25:26], v[53:54], v[27:28]
	v_add_f64 v[27:28], v[104:105], v[73:74]
	v_add_f64 v[29:30], v[67:68], v[110:111]
	v_add_f64 v[31:32], v[114:115], v[100:101]
	v_add_f64 v[33:34], v[78:79], v[57:58]
	v_add_f64 v[35:36], v[92:93], v[112:113]
	v_add_f64 v[37:38], v[90:91], v[116:117]
	v_add_f64 v[39:40], v[138:139], v[118:119]
	v_add_f64 v[41:42], v[86:87], v[63:64]
	v_lshlrev_b64 v[47:48], 4, v[76:77]
	v_add_nc_u32_e32 v76, s46, v76
	s_delay_alu instid0(VALU_DEP_1) | instskip(SKIP_1) | instid1(VALU_DEP_4)
	v_lshlrev_b64 v[53:54], 4, v[76:77]
	v_add_nc_u32_e32 v76, s46, v76
	v_add_co_u32 v47, vcc_lo, s10, v47
	v_add_co_ci_u32_e32 v48, vcc_lo, s11, v48, vcc_lo
	s_delay_alu instid0(VALU_DEP_3) | instskip(SKIP_3) | instid1(VALU_DEP_3)
	v_lshlrev_b64 v[55:56], 4, v[76:77]
	v_add_nc_u32_e32 v76, s46, v76
	v_add_co_u32 v53, vcc_lo, s10, v53
	v_add_co_ci_u32_e32 v54, vcc_lo, s11, v54, vcc_lo
	v_lshlrev_b64 v[57:58], 4, v[76:77]
	v_add_co_u32 v55, vcc_lo, s10, v55
	v_add_co_ci_u32_e32 v56, vcc_lo, s11, v56, vcc_lo
	s_delay_alu instid0(VALU_DEP_3) | instskip(NEXT) | instid1(VALU_DEP_4)
	v_add_co_u32 v57, vcc_lo, s10, v57
	v_add_co_ci_u32_e32 v58, vcc_lo, s11, v58, vcc_lo
	s_clause 0xa
	global_store_b128 v[45:46], v[0:3], off
	global_store_b128 v[49:50], v[5:8], off
	;; [unrolled: 1-line block ×11, first 2 shown]
	s_nop 0
	s_sendmsg sendmsg(MSG_DEALLOC_VGPRS)
	s_endpgm
	.section	.rodata,"a",@progbits
	.p2align	6, 0x0
	.amdhsa_kernel fft_rtc_back_len1331_factors_11_11_11_wgs_121_tpt_121_dp_op_CI_CI_sbrc_z_xy_unaligned_dirReg
		.amdhsa_group_segment_fixed_size 0
		.amdhsa_private_segment_fixed_size 0
		.amdhsa_kernarg_size 104
		.amdhsa_user_sgpr_count 15
		.amdhsa_user_sgpr_dispatch_ptr 0
		.amdhsa_user_sgpr_queue_ptr 0
		.amdhsa_user_sgpr_kernarg_segment_ptr 1
		.amdhsa_user_sgpr_dispatch_id 0
		.amdhsa_user_sgpr_private_segment_size 0
		.amdhsa_wavefront_size32 1
		.amdhsa_uses_dynamic_stack 0
		.amdhsa_enable_private_segment 0
		.amdhsa_system_sgpr_workgroup_id_x 1
		.amdhsa_system_sgpr_workgroup_id_y 0
		.amdhsa_system_sgpr_workgroup_id_z 0
		.amdhsa_system_sgpr_workgroup_info 0
		.amdhsa_system_vgpr_workitem_id 0
		.amdhsa_next_free_vgpr 214
		.amdhsa_next_free_sgpr 47
		.amdhsa_reserve_vcc 1
		.amdhsa_float_round_mode_32 0
		.amdhsa_float_round_mode_16_64 0
		.amdhsa_float_denorm_mode_32 3
		.amdhsa_float_denorm_mode_16_64 3
		.amdhsa_dx10_clamp 1
		.amdhsa_ieee_mode 1
		.amdhsa_fp16_overflow 0
		.amdhsa_workgroup_processor_mode 1
		.amdhsa_memory_ordered 1
		.amdhsa_forward_progress 0
		.amdhsa_shared_vgpr_count 0
		.amdhsa_exception_fp_ieee_invalid_op 0
		.amdhsa_exception_fp_denorm_src 0
		.amdhsa_exception_fp_ieee_div_zero 0
		.amdhsa_exception_fp_ieee_overflow 0
		.amdhsa_exception_fp_ieee_underflow 0
		.amdhsa_exception_fp_ieee_inexact 0
		.amdhsa_exception_int_div_zero 0
	.end_amdhsa_kernel
	.text
.Lfunc_end0:
	.size	fft_rtc_back_len1331_factors_11_11_11_wgs_121_tpt_121_dp_op_CI_CI_sbrc_z_xy_unaligned_dirReg, .Lfunc_end0-fft_rtc_back_len1331_factors_11_11_11_wgs_121_tpt_121_dp_op_CI_CI_sbrc_z_xy_unaligned_dirReg
                                        ; -- End function
	.section	.AMDGPU.csdata,"",@progbits
; Kernel info:
; codeLenInByte = 11232
; NumSgprs: 49
; NumVgprs: 214
; ScratchSize: 0
; MemoryBound: 0
; FloatMode: 240
; IeeeMode: 1
; LDSByteSize: 0 bytes/workgroup (compile time only)
; SGPRBlocks: 6
; VGPRBlocks: 26
; NumSGPRsForWavesPerEU: 49
; NumVGPRsForWavesPerEU: 214
; Occupancy: 7
; WaveLimiterHint : 1
; COMPUTE_PGM_RSRC2:SCRATCH_EN: 0
; COMPUTE_PGM_RSRC2:USER_SGPR: 15
; COMPUTE_PGM_RSRC2:TRAP_HANDLER: 0
; COMPUTE_PGM_RSRC2:TGID_X_EN: 1
; COMPUTE_PGM_RSRC2:TGID_Y_EN: 0
; COMPUTE_PGM_RSRC2:TGID_Z_EN: 0
; COMPUTE_PGM_RSRC2:TIDIG_COMP_CNT: 0
	.text
	.p2alignl 7, 3214868480
	.fill 96, 4, 3214868480
	.type	__hip_cuid_92744aa6c5deb4c9,@object ; @__hip_cuid_92744aa6c5deb4c9
	.section	.bss,"aw",@nobits
	.globl	__hip_cuid_92744aa6c5deb4c9
__hip_cuid_92744aa6c5deb4c9:
	.byte	0                               ; 0x0
	.size	__hip_cuid_92744aa6c5deb4c9, 1

	.ident	"AMD clang version 19.0.0git (https://github.com/RadeonOpenCompute/llvm-project roc-6.4.0 25133 c7fe45cf4b819c5991fe208aaa96edf142730f1d)"
	.section	".note.GNU-stack","",@progbits
	.addrsig
	.addrsig_sym __hip_cuid_92744aa6c5deb4c9
	.amdgpu_metadata
---
amdhsa.kernels:
  - .args:
      - .actual_access:  read_only
        .address_space:  global
        .offset:         0
        .size:           8
        .value_kind:     global_buffer
      - .offset:         8
        .size:           8
        .value_kind:     by_value
      - .actual_access:  read_only
        .address_space:  global
        .offset:         16
        .size:           8
        .value_kind:     global_buffer
      - .actual_access:  read_only
        .address_space:  global
        .offset:         24
        .size:           8
        .value_kind:     global_buffer
      - .actual_access:  read_only
        .address_space:  global
        .offset:         32
        .size:           8
        .value_kind:     global_buffer
      - .offset:         40
        .size:           8
        .value_kind:     by_value
      - .actual_access:  read_only
        .address_space:  global
        .offset:         48
        .size:           8
        .value_kind:     global_buffer
      - .actual_access:  read_only
        .address_space:  global
        .offset:         56
        .size:           8
        .value_kind:     global_buffer
      - .offset:         64
        .size:           4
        .value_kind:     by_value
      - .actual_access:  read_only
        .address_space:  global
        .offset:         72
        .size:           8
        .value_kind:     global_buffer
      - .actual_access:  read_only
        .address_space:  global
        .offset:         80
        .size:           8
        .value_kind:     global_buffer
      - .actual_access:  read_only
        .address_space:  global
        .offset:         88
        .size:           8
        .value_kind:     global_buffer
      - .actual_access:  write_only
        .address_space:  global
        .offset:         96
        .size:           8
        .value_kind:     global_buffer
    .group_segment_fixed_size: 0
    .kernarg_segment_align: 8
    .kernarg_segment_size: 104
    .language:       OpenCL C
    .language_version:
      - 2
      - 0
    .max_flat_workgroup_size: 121
    .name:           fft_rtc_back_len1331_factors_11_11_11_wgs_121_tpt_121_dp_op_CI_CI_sbrc_z_xy_unaligned_dirReg
    .private_segment_fixed_size: 0
    .sgpr_count:     49
    .sgpr_spill_count: 0
    .symbol:         fft_rtc_back_len1331_factors_11_11_11_wgs_121_tpt_121_dp_op_CI_CI_sbrc_z_xy_unaligned_dirReg.kd
    .uniform_work_group_size: 1
    .uses_dynamic_stack: false
    .vgpr_count:     214
    .vgpr_spill_count: 0
    .wavefront_size: 32
    .workgroup_processor_mode: 1
amdhsa.target:   amdgcn-amd-amdhsa--gfx1100
amdhsa.version:
  - 1
  - 2
...

	.end_amdgpu_metadata
